;; amdgpu-corpus repo=zjin-lcf/HeCBench kind=compiled arch=gfx906 opt=O3
	.amdgcn_target "amdgcn-amd-amdhsa--gfx906"
	.amdhsa_code_object_version 6
	.text
	.protected	_Z19kernel_gpupcg_setupPmS_imm ; -- Begin function _Z19kernel_gpupcg_setupPmS_imm
	.globl	_Z19kernel_gpupcg_setupPmS_imm
	.p2align	8
	.type	_Z19kernel_gpupcg_setupPmS_imm,@function
_Z19kernel_gpupcg_setupPmS_imm:         ; @_Z19kernel_gpupcg_setupPmS_imm
; %bb.0:
	s_load_dword s0, s[4:5], 0x34
	s_load_dword s1, s[4:5], 0x10
	s_waitcnt lgkmcnt(0)
	s_and_b32 s0, s0, 0xffff
	s_mul_i32 s6, s6, s0
	v_add_u32_e32 v0, s6, v0
	v_cmp_gt_i32_e32 vcc, s1, v0
	s_and_saveexec_b64 s[0:1], vcc
	s_cbranch_execz .LBB0_2
; %bb.1:
	s_load_dwordx4 s[0:3], s[4:5], 0x18
	s_load_dwordx4 s[8:11], s[4:5], 0x0
	v_ashrrev_i32_e32 v1, 31, v0
	v_lshlrev_b64 v[2:3], 3, v[0:1]
	s_mov_b32 s5, 0
	s_waitcnt lgkmcnt(0)
	s_mul_i32 s4, s2, 0xc6a4a793
	s_mul_hi_u32 s6, s2, 0x5bd1e995
	s_add_i32 s4, s6, s4
	s_mul_i32 s3, s3, 0x5bd1e995
	s_add_i32 s3, s4, s3
	s_mul_i32 s2, s2, 0x5bd1e995
	s_lshr_b32 s4, s3, 15
	s_xor_b32 s2, s4, s2
	s_mul_i32 s4, s2, 0xc6a4a793
	s_mul_hi_u32 s6, s2, 0x5bd1e995
	s_add_i32 s4, s6, s4
	s_mul_i32 s3, s3, 0x5bd1e995
	s_mul_i32 s2, s2, 0x5bd1e995
	s_add_i32 s4, s4, s3
	s_xor_b32 s2, s2, 0xde8f4c87
	s_xor_b32 s3, s4, 0x35253c9a
	s_mul_i32 s4, s2, 0xc6a4a793
	s_mul_hi_u32 s6, s2, 0x5bd1e995
	s_add_i32 s4, s6, s4
	s_mul_i32 s3, s3, 0x5bd1e995
	s_add_i32 s3, s4, s3
	s_mul_i32 s2, s2, 0x5bd1e995
	s_lshr_b32 s4, s3, 15
	s_xor_b32 s2, s4, s2
	s_mul_i32 s4, s2, 0xc6a4a793
	s_mul_hi_u32 s6, s2, 0x5bd1e995
	s_add_i32 s4, s6, s4
	s_mul_i32 s3, s3, 0x5bd1e995
	v_mov_b32_e32 v5, s9
	v_add_co_u32_e32 v4, vcc, s8, v2
	s_add_i32 s3, s4, s3
	v_addc_co_u32_e32 v5, vcc, v5, v3, vcc
	s_mul_i32 s2, s2, 0x5bd1e995
	s_lshr_b32 s4, s3, 15
	v_mov_b32_e32 v6, s11
	v_add_co_u32_e32 v2, vcc, s10, v2
	s_xor_b64 s[2:3], s[4:5], s[2:3]
	v_addc_co_u32_e32 v3, vcc, v6, v3, vcc
	v_mov_b32_e32 v6, 0
	v_mov_b32_e32 v7, v6
	s_lshl_b64 s[2:3], s[2:3], 1
	global_store_dwordx2 v[4:5], v[6:7], off
	s_or_b32 s2, s2, 1
	v_mov_b32_e32 v7, s3
	v_mov_b32_e32 v6, s2
	global_store_dwordx2 v[2:3], v[6:7], off
	global_load_dwordx2 v[6:7], v[4:5], off
	v_mov_b32_e32 v8, s1
	v_add_co_u32_e32 v0, vcc, s0, v0
	s_mov_b32 s4, 0x5bd1e995
	s_mov_b32 s5, 0xc6a4a793
	v_addc_co_u32_e32 v8, vcc, v8, v1, vcc
	v_mul_lo_u32 v9, v0, s5
	v_mad_u64_u32 v[0:1], s[0:1], v0, s4, 0
	v_mul_lo_u32 v8, v8, s4
	v_mov_b32_e32 v10, s3
	v_add3_u32 v1, v1, v9, v8
	v_lshrrev_b32_e32 v8, 15, v1
	v_xor_b32_e32 v0, v8, v0
	v_mul_lo_u32 v9, v1, s4
	v_mul_lo_u32 v8, v0, s5
	v_mad_u64_u32 v[0:1], s[0:1], v0, s4, 0
	v_add3_u32 v1, v1, v8, v9
	v_xor_b32_e32 v0, 0xde8f4cb9, v0
	v_xor_b32_e32 v8, 0x35253c9a, v1
	v_mul_lo_u32 v9, v0, s5
	v_mad_u64_u32 v[0:1], s[0:1], v0, s4, 0
	v_mul_lo_u32 v8, v8, s4
	v_add3_u32 v1, v1, v9, v8
	v_lshrrev_b32_e32 v8, 15, v1
	v_xor_b32_e32 v0, v8, v0
	v_mul_lo_u32 v9, v1, s4
	v_mul_lo_u32 v8, v0, s5
	v_mad_u64_u32 v[0:1], s[0:1], v0, s4, 0
	s_mov_b32 s4, 0x4c957f2d
	s_mov_b32 s5, 0x5851f42d
	v_add3_u32 v1, v1, v8, v9
	v_lshrrev_b32_e32 v8, 15, v1
	v_xor_b32_e32 v0, v8, v0
	v_add_co_u32_e32 v0, vcc, s2, v0
	v_addc_co_u32_e32 v1, vcc, v1, v10, vcc
	s_waitcnt vmcnt(0)
	v_mad_u64_u32 v[0:1], s[0:1], v6, s4, v[0:1]
	v_mul_lo_u32 v6, v6, s5
	v_mul_lo_u32 v7, v7, s4
	v_add3_u32 v1, v7, v1, v6
	global_store_dwordx2 v[4:5], v[0:1], off
	global_load_dwordx2 v[2:3], v[2:3], off
	v_mul_lo_u32 v6, v0, s5
	v_mul_lo_u32 v7, v1, s4
	s_waitcnt vmcnt(0)
	v_mad_u64_u32 v[0:1], s[0:1], v0, s4, v[2:3]
	v_add3_u32 v1, v7, v1, v6
	global_store_dwordx2 v[4:5], v[0:1], off
.LBB0_2:
	s_endpgm
	.section	.rodata,"a",@progbits
	.p2align	6, 0x0
	.amdhsa_kernel _Z19kernel_gpupcg_setupPmS_imm
		.amdhsa_group_segment_fixed_size 0
		.amdhsa_private_segment_fixed_size 0
		.amdhsa_kernarg_size 296
		.amdhsa_user_sgpr_count 6
		.amdhsa_user_sgpr_private_segment_buffer 1
		.amdhsa_user_sgpr_dispatch_ptr 0
		.amdhsa_user_sgpr_queue_ptr 0
		.amdhsa_user_sgpr_kernarg_segment_ptr 1
		.amdhsa_user_sgpr_dispatch_id 0
		.amdhsa_user_sgpr_flat_scratch_init 0
		.amdhsa_user_sgpr_private_segment_size 0
		.amdhsa_uses_dynamic_stack 0
		.amdhsa_system_sgpr_private_segment_wavefront_offset 0
		.amdhsa_system_sgpr_workgroup_id_x 1
		.amdhsa_system_sgpr_workgroup_id_y 0
		.amdhsa_system_sgpr_workgroup_id_z 0
		.amdhsa_system_sgpr_workgroup_info 0
		.amdhsa_system_vgpr_workitem_id 0
		.amdhsa_next_free_vgpr 11
		.amdhsa_next_free_sgpr 12
		.amdhsa_reserve_vcc 1
		.amdhsa_reserve_flat_scratch 0
		.amdhsa_float_round_mode_32 0
		.amdhsa_float_round_mode_16_64 0
		.amdhsa_float_denorm_mode_32 3
		.amdhsa_float_denorm_mode_16_64 3
		.amdhsa_dx10_clamp 1
		.amdhsa_ieee_mode 1
		.amdhsa_fp16_overflow 0
		.amdhsa_exception_fp_ieee_invalid_op 0
		.amdhsa_exception_fp_denorm_src 0
		.amdhsa_exception_fp_ieee_div_zero 0
		.amdhsa_exception_fp_ieee_overflow 0
		.amdhsa_exception_fp_ieee_underflow 0
		.amdhsa_exception_fp_ieee_inexact 0
		.amdhsa_exception_int_div_zero 0
	.end_amdhsa_kernel
	.text
.Lfunc_end0:
	.size	_Z19kernel_gpupcg_setupPmS_imm, .Lfunc_end0-_Z19kernel_gpupcg_setupPmS_imm
                                        ; -- End function
	.set _Z19kernel_gpupcg_setupPmS_imm.num_vgpr, 11
	.set _Z19kernel_gpupcg_setupPmS_imm.num_agpr, 0
	.set _Z19kernel_gpupcg_setupPmS_imm.numbered_sgpr, 12
	.set _Z19kernel_gpupcg_setupPmS_imm.num_named_barrier, 0
	.set _Z19kernel_gpupcg_setupPmS_imm.private_seg_size, 0
	.set _Z19kernel_gpupcg_setupPmS_imm.uses_vcc, 1
	.set _Z19kernel_gpupcg_setupPmS_imm.uses_flat_scratch, 0
	.set _Z19kernel_gpupcg_setupPmS_imm.has_dyn_sized_stack, 0
	.set _Z19kernel_gpupcg_setupPmS_imm.has_recursion, 0
	.set _Z19kernel_gpupcg_setupPmS_imm.has_indirect_call, 0
	.section	.AMDGPU.csdata,"",@progbits
; Kernel info:
; codeLenInByte = 680
; TotalNumSgprs: 16
; NumVgprs: 11
; ScratchSize: 0
; MemoryBound: 0
; FloatMode: 240
; IeeeMode: 1
; LDSByteSize: 0 bytes/workgroup (compile time only)
; SGPRBlocks: 1
; VGPRBlocks: 2
; NumSGPRsForWavesPerEU: 16
; NumVGPRsForWavesPerEU: 11
; Occupancy: 10
; WaveLimiterHint : 0
; COMPUTE_PGM_RSRC2:SCRATCH_EN: 0
; COMPUTE_PGM_RSRC2:USER_SGPR: 6
; COMPUTE_PGM_RSRC2:TRAP_HANDLER: 0
; COMPUTE_PGM_RSRC2:TGID_X_EN: 1
; COMPUTE_PGM_RSRC2:TGID_Y_EN: 0
; COMPUTE_PGM_RSRC2:TGID_Z_EN: 0
; COMPUTE_PGM_RSRC2:TIDIG_COMP_CNT: 0
	.text
	.protected	_Z17kernel_metropolisiiPiPKiffPmS2_i ; -- Begin function _Z17kernel_metropolisiiPiPKiffPmS2_i
	.globl	_Z17kernel_metropolisiiPiPKiffPmS2_i
	.p2align	8
	.type	_Z17kernel_metropolisiiPiPKiffPmS2_i,@function
_Z17kernel_metropolisiiPiPKiffPmS2_i:   ; @_Z17kernel_metropolisiiPiPKiffPmS2_i
; %bb.0:
	s_load_dword s9, s[4:5], 0x30
	s_load_dword s16, s[4:5], 0x4
	s_load_dwordx4 s[0:3], s[4:5], 0x8
	s_add_i32 s10, s6, s8
	s_lshl_b32 s11, s7, 4
	s_waitcnt lgkmcnt(0)
	s_add_i32 s10, s10, s9
	s_lshl_b32 s9, s10, 3
	s_and_b32 s10, s9, 8
	s_lshl_b32 s9, s8, 2
	v_add_u32_e32 v3, s9, v2
	v_mul_lo_u32 v25, s16, v3
	s_or_b32 s18, s10, s11
	v_lshlrev_b32_e32 v18, 1, v1
	v_add_u32_e32 v3, s18, v18
	v_mul_lo_u32 v13, v25, s16
	v_mul_lo_u32 v22, v3, s16
	v_or_b32_e32 v5, 1, v3
	v_mul_lo_u32 v21, v5, s16
	s_lshl_b32 s17, s6, 4
	v_add_u32_e32 v14, s17, v0
	v_add_u32_e32 v8, v22, v13
	;; [unrolled: 1-line block ×3, first 2 shown]
	v_ashrrev_i32_e32 v4, 31, v3
	v_add_u32_e32 v7, v21, v13
	v_lshlrev_b64 v[9:10], 2, v[3:4]
	v_add_u32_e32 v5, v7, v14
	v_ashrrev_i32_e32 v6, 31, v5
	v_mov_b32_e32 v4, s1
	v_add_co_u32_e32 v3, vcc, s0, v9
	v_lshlrev_b64 v[11:12], 2, v[5:6]
	v_addc_co_u32_e32 v4, vcc, v4, v10, vcc
	v_mov_b32_e32 v6, s1
	v_add_co_u32_e32 v5, vcc, s0, v11
	v_addc_co_u32_e32 v6, vcc, v6, v12, vcc
	global_load_dword v16, v[3:4], off
	global_load_dword v20, v[5:6], off
	v_mul_u32_u24_e32 v19, 0xb4, v2
	v_mul_u32_u24_e32 v23, 36, v1
	v_lshlrev_b32_e32 v17, 2, v19
	v_lshl_add_u32 v24, v23, 2, v17
	v_lshl_add_u32 v15, v0, 2, v24
	v_add_co_u32_e32 v9, vcc, s2, v9
	s_waitcnt vmcnt(0)
	ds_write2_b32 v15, v16, v20 offset0:199 offset1:217
	v_mov_b32_e32 v16, s3
	v_addc_co_u32_e32 v10, vcc, v16, v10, vcc
	v_add_co_u32_e32 v11, vcc, s2, v11
	v_addc_co_u32_e32 v12, vcc, v16, v12, vcc
	global_load_dword v20, v[9:10], off
	global_load_dword v16, v[11:12], off
	v_cmp_lt_i32_e32 vcc, 2, v1
	s_mov_b64 s[2:3], 0
                                        ; implicit-def: $vgpr10
                                        ; implicit-def: $vgpr9
	s_and_saveexec_b64 s[10:11], vcc
	s_xor_b64 s[10:11], exec, s[10:11]
	s_cbranch_execnz .LBB1_31
; %bb.1:
	s_andn2_saveexec_b64 s[10:11], s[10:11]
	s_cbranch_execnz .LBB1_34
.LBB1_2:
	s_or_b64 exec, exec, s[10:11]
	s_and_saveexec_b64 s[10:11], s[2:3]
	s_cbranch_execz .LBB1_4
.LBB1_3:
	v_add_u32_e32 v10, v10, v14
	v_ashrrev_i32_e32 v11, 31, v10
	v_lshlrev_b64 v[10:11], 2, v[10:11]
	v_mov_b32_e32 v12, s1
	v_add_co_u32_e32 v10, vcc, s0, v10
	v_addc_co_u32_e32 v11, vcc, v12, v11, vcc
	global_load_dword v10, v[10:11], off
	v_lshl_add_u32 v9, v0, 2, v9
	s_waitcnt vmcnt(0)
	ds_write_b32 v9, v10 offset:4
.LBB1_4:
	s_or_b64 exec, exec, s[10:11]
	v_cmp_lt_i32_e32 vcc, 14, v0
	s_and_saveexec_b64 s[2:3], vcc
	s_xor_b64 s[2:3], exec, s[2:3]
	s_cbranch_execz .LBB1_11
; %bb.5:
	v_cmp_eq_u32_e32 vcc, 15, v0
	s_and_saveexec_b64 s[10:11], vcc
	s_cbranch_execz .LBB1_10
; %bb.6:
	s_load_dword s12, s[4:5], 0x38
	s_waitcnt lgkmcnt(0)
	s_add_i32 s12, s12, -1
	s_cmp_lg_u32 s6, s12
	s_mov_b64 s[12:13], -1
	s_cbranch_scc0 .LBB1_8
; %bb.7:
	s_ashr_i32 s12, s17, 31
	v_ashrrev_i32_e32 v10, 31, v8
	v_mov_b32_e32 v11, s12
	v_add_co_u32_e32 v9, vcc, s17, v8
	v_addc_co_u32_e32 v10, vcc, v10, v11, vcc
	v_lshlrev_b64 v[9:10], 2, v[9:10]
	v_mov_b32_e32 v11, s1
	v_add_co_u32_e32 v9, vcc, s0, v9
	v_addc_co_u32_e32 v10, vcc, v11, v10, vcc
	v_ashrrev_i32_e32 v12, 31, v7
	v_mov_b32_e32 v25, s12
	v_add_co_u32_e32 v11, vcc, s17, v7
	v_addc_co_u32_e32 v12, vcc, v12, v25, vcc
	v_lshlrev_b64 v[11:12], 2, v[11:12]
	v_mov_b32_e32 v25, s1
	v_add_co_u32_e32 v11, vcc, s0, v11
	v_addc_co_u32_e32 v12, vcc, v25, v12, vcc
	global_load_dword v25, v[9:10], off offset:64
	global_load_dword v26, v[11:12], off offset:64
	s_mov_b64 s[12:13], 0
	s_waitcnt vmcnt(0)
	ds_write2_b32 v24, v25, v26 offset0:215 offset1:233
.LBB1_8:
	s_andn2_b64 vcc, exec, s[12:13]
	s_cbranch_vccnz .LBB1_10
; %bb.9:
	v_ashrrev_i32_e32 v9, 31, v8
	v_lshlrev_b64 v[8:9], 2, v[8:9]
	v_mov_b32_e32 v11, s1
	v_add_co_u32_e32 v10, vcc, s0, v8
	v_ashrrev_i32_e32 v8, 31, v7
	v_lshlrev_b64 v[7:8], 2, v[7:8]
	v_addc_co_u32_e32 v11, vcc, v11, v9, vcc
	v_mov_b32_e32 v9, s1
	v_add_co_u32_e32 v7, vcc, s0, v7
	v_addc_co_u32_e32 v8, vcc, v9, v8, vcc
	global_load_dword v9, v[10:11], off
	global_load_dword v12, v[7:8], off
	s_waitcnt vmcnt(0)
	ds_write2_b32 v24, v9, v12 offset0:215 offset1:233
.LBB1_10:
	s_or_b64 exec, exec, s[10:11]
                                        ; implicit-def: $vgpr8
                                        ; implicit-def: $vgpr7
                                        ; implicit-def: $vgpr24
.LBB1_11:
	s_andn2_saveexec_b64 s[2:3], s[2:3]
	s_cbranch_execz .LBB1_17
; %bb.12:
	v_cmp_eq_u32_e32 vcc, 0, v0
	s_and_saveexec_b64 s[10:11], vcc
	s_cbranch_execz .LBB1_16
; %bb.13:
	s_cmp_lg_u32 s6, 0
	v_ashrrev_i32_e32 v10, 31, v8
	v_ashrrev_i32_e32 v9, 31, v7
	s_cbranch_scc0 .LBB1_37
; %bb.14:
	s_ashr_i32 s6, s17, 31
	v_mov_b32_e32 v12, s6
	v_add_co_u32_e32 v11, vcc, s17, v8
	v_addc_co_u32_e32 v12, vcc, v10, v12, vcc
	v_lshlrev_b64 v[11:12], 2, v[11:12]
	v_mov_b32_e32 v25, s1
	v_add_co_u32_e32 v11, vcc, s0, v11
	v_addc_co_u32_e32 v12, vcc, v25, v12, vcc
	v_mov_b32_e32 v26, s6
	v_add_co_u32_e32 v25, vcc, s17, v7
	v_addc_co_u32_e32 v26, vcc, v9, v26, vcc
	v_lshlrev_b64 v[25:26], 2, v[25:26]
	v_mov_b32_e32 v27, s1
	v_add_co_u32_e32 v25, vcc, s0, v25
	v_addc_co_u32_e32 v26, vcc, v27, v26, vcc
	global_load_dword v27, v[11:12], off offset:-4
	global_load_dword v28, v[25:26], off offset:-4
	s_waitcnt vmcnt(0)
	ds_write2_b32 v24, v27, v28 offset0:198 offset1:216
	s_cbranch_execnz .LBB1_16
.LBB1_15:
	s_ashr_i32 s6, s16, 31
	v_mov_b32_e32 v12, s6
	v_add_co_u32_e32 v11, vcc, s16, v8
	v_addc_co_u32_e32 v12, vcc, v10, v12, vcc
	v_lshlrev_b64 v[10:11], 2, v[11:12]
	v_mov_b32_e32 v8, s1
	v_add_co_u32_e32 v10, vcc, s0, v10
	v_addc_co_u32_e32 v11, vcc, v8, v11, vcc
	v_mov_b32_e32 v8, s6
	v_add_co_u32_e32 v7, vcc, s16, v7
	v_addc_co_u32_e32 v8, vcc, v9, v8, vcc
	v_lshlrev_b64 v[7:8], 2, v[7:8]
	v_mov_b32_e32 v9, s1
	v_add_co_u32_e32 v7, vcc, s0, v7
	v_addc_co_u32_e32 v8, vcc, v9, v8, vcc
	global_load_dword v9, v[10:11], off offset:-4
	global_load_dword v12, v[7:8], off offset:-4
	s_waitcnt vmcnt(0)
	ds_write2_b32 v24, v9, v12 offset0:198 offset1:216
.LBB1_16:
	s_or_b64 exec, exec, s[10:11]
.LBB1_17:
	s_or_b64 exec, exec, s[2:3]
	v_cmp_lt_i32_e32 vcc, 2, v2
	s_and_saveexec_b64 s[2:3], vcc
	s_xor_b64 s[2:3], exec, s[2:3]
	s_cbranch_execz .LBB1_24
; %bb.18:
	v_cmp_eq_u32_e32 vcc, 3, v2
	s_and_saveexec_b64 s[10:11], vcc
	s_cbranch_execz .LBB1_23
; %bb.19:
	s_load_dword s6, s[4:5], 0x40
	s_mov_b64 s[12:13], -1
	s_waitcnt lgkmcnt(0)
	s_add_i32 s6, s6, -1
	s_cmp_lg_u32 s8, s6
	s_cbranch_scc0 .LBB1_21
; %bb.20:
	s_add_i32 s6, s9, 4
	s_mul_i32 s12, s16, s16
	s_mul_i32 s12, s12, s6
	v_add_u32_e32 v9, s12, v14
	v_add_u32_e32 v7, v9, v22
	v_ashrrev_i32_e32 v8, 31, v7
	v_lshlrev_b64 v[7:8], 2, v[7:8]
	v_mov_b32_e32 v10, s1
	v_add_co_u32_e32 v7, vcc, s0, v7
	v_add_u32_e32 v9, v9, v21
	v_addc_co_u32_e32 v8, vcc, v10, v8, vcc
	v_ashrrev_i32_e32 v10, 31, v9
	v_lshlrev_b64 v[9:10], 2, v[9:10]
	v_mov_b32_e32 v11, s1
	v_add_co_u32_e32 v9, vcc, s0, v9
	v_addc_co_u32_e32 v10, vcc, v11, v10, vcc
	global_load_dword v11, v[7:8], off
	global_load_dword v12, v[9:10], off
	v_lshlrev_b32_e32 v7, 2, v0
	v_lshl_add_u32 v7, v23, 2, v7
	v_add_u32_e32 v7, 0xc00, v7
	s_mov_b64 s[12:13], 0
	s_waitcnt vmcnt(0)
	ds_write2_b32 v7, v11, v12 offset0:151 offset1:169
.LBB1_21:
	s_andn2_b64 vcc, exec, s[12:13]
	s_cbranch_vccnz .LBB1_23
; %bb.22:
	v_add_u32_e32 v7, v22, v14
	v_ashrrev_i32_e32 v8, 31, v7
	v_lshlrev_b64 v[7:8], 2, v[7:8]
	v_mov_b32_e32 v9, s1
	v_add_co_u32_e32 v7, vcc, s0, v7
	v_addc_co_u32_e32 v8, vcc, v9, v8, vcc
	v_add_u32_e32 v9, v21, v14
	v_ashrrev_i32_e32 v10, 31, v9
	v_lshlrev_b64 v[9:10], 2, v[9:10]
	v_mov_b32_e32 v11, s1
	v_add_co_u32_e32 v9, vcc, s0, v9
	v_addc_co_u32_e32 v10, vcc, v11, v10, vcc
	global_load_dword v11, v[7:8], off
	global_load_dword v12, v[9:10], off
	v_lshlrev_b32_e32 v7, 2, v0
	v_lshl_add_u32 v7, v23, 2, v7
	v_add_u32_e32 v7, 0xc00, v7
	s_waitcnt vmcnt(0)
	ds_write2_b32 v7, v11, v12 offset0:151 offset1:169
.LBB1_23:
	s_or_b64 exec, exec, s[10:11]
                                        ; implicit-def: $vgpr22
                                        ; implicit-def: $vgpr21
                                        ; implicit-def: $vgpr23
.LBB1_24:
	s_andn2_saveexec_b64 s[2:3], s[2:3]
	s_cbranch_execz .LBB1_30
; %bb.25:
	v_cmp_eq_u32_e32 vcc, 0, v2
	s_and_saveexec_b64 s[10:11], vcc
	s_cbranch_execz .LBB1_29
; %bb.26:
	v_lshlrev_b32_e32 v7, 2, v0
	s_cmp_lg_u32 s8, 0
	s_mul_i32 s6, s16, s16
	v_lshl_add_u32 v7, v23, 2, v7
	s_cbranch_scc0 .LBB1_38
; %bb.27:
	s_add_i32 s9, s9, -1
	s_mul_i32 s8, s6, s9
	v_add_u32_e32 v10, s8, v14
	v_add_u32_e32 v8, v10, v22
	v_ashrrev_i32_e32 v9, 31, v8
	v_lshlrev_b64 v[8:9], 2, v[8:9]
	v_mov_b32_e32 v11, s1
	v_add_co_u32_e32 v8, vcc, s0, v8
	v_add_u32_e32 v10, v10, v21
	v_addc_co_u32_e32 v9, vcc, v11, v9, vcc
	v_ashrrev_i32_e32 v11, 31, v10
	v_lshlrev_b64 v[10:11], 2, v[10:11]
	v_mov_b32_e32 v12, s1
	v_add_co_u32_e32 v10, vcc, s0, v10
	v_addc_co_u32_e32 v11, vcc, v12, v11, vcc
	global_load_dword v12, v[8:9], off
	global_load_dword v23, v[10:11], off
	s_waitcnt vmcnt(0)
	ds_write2_b32 v7, v12, v23 offset0:19 offset1:37
	s_cbranch_execnz .LBB1_29
.LBB1_28:
	s_add_i32 s8, s16, -1
	s_mul_i32 s6, s6, s8
	v_add_u32_e32 v10, s6, v14
	v_add_u32_e32 v8, v10, v22
	v_ashrrev_i32_e32 v9, 31, v8
	v_lshlrev_b64 v[8:9], 2, v[8:9]
	v_mov_b32_e32 v11, s1
	v_add_co_u32_e32 v8, vcc, s0, v8
	v_add_u32_e32 v10, v10, v21
	v_addc_co_u32_e32 v9, vcc, v11, v9, vcc
	v_ashrrev_i32_e32 v11, 31, v10
	v_lshlrev_b64 v[10:11], 2, v[10:11]
	v_mov_b32_e32 v12, s1
	v_add_co_u32_e32 v10, vcc, s0, v10
	v_addc_co_u32_e32 v11, vcc, v12, v11, vcc
	global_load_dword v12, v[8:9], off
	global_load_dword v21, v[10:11], off
	s_waitcnt vmcnt(0)
	ds_write2_b32 v7, v12, v21 offset0:19 offset1:37
.LBB1_29:
	s_or_b64 exec, exec, s[10:11]
.LBB1_30:
	s_or_b64 exec, exec, s[2:3]
	s_lshl_b32 s6, s7, 2
	s_and_b32 s6, s6, 0x7ffffffc
	v_add_u32_e32 v1, s6, v1
	v_mul_lo_u32 v1, v1, s16
	v_ashrrev_i32_e32 v7, 31, v13
	v_lshrrev_b32_e32 v7, 30, v7
	v_add_u32_e32 v7, v13, v7
	s_load_dwordx4 s[0:3], s[4:5], 0x20
	v_ashrrev_i32_e32 v7, 2, v7
	v_add3_u32 v7, v1, v14, v7
	v_ashrrev_i32_e32 v8, 31, v7
	v_lshlrev_b64 v[9:10], 3, v[7:8]
	s_waitcnt lgkmcnt(0)
	v_mov_b32_e32 v1, s1
	v_add_co_u32_e32 v7, vcc, s0, v9
	v_addc_co_u32_e32 v8, vcc, v1, v10, vcc
	global_load_dwordx2 v[13:14], v[7:8], off
	v_mov_b32_e32 v1, s3
	v_add_co_u32_e32 v9, vcc, s2, v9
	v_addc_co_u32_e32 v10, vcc, v1, v10, vcc
	global_load_dwordx2 v[11:12], v[9:10], off
	v_add_u32_e32 v1, v0, v2
	v_and_or_b32 v25, v1, 1, v18
	v_mul_u32_u24_e32 v1, 18, v25
	v_add_u32_e32 v22, 0xb4, v19
	v_lshlrev_b32_e32 v23, 2, v0
	v_lshlrev_b32_e32 v1, 2, v1
	v_mad_u32_u24 v2, v25, 18, v22
	v_add3_u32 v18, v17, v1, v23
	s_waitcnt vmcnt(3)
	v_cvt_f32_i32_e32 v24, v20
	v_lshl_add_u32 v26, v2, 2, v23
	v_add_u32_e32 v20, 0x200, v18
	s_waitcnt vmcnt(0)
	s_barrier
	ds_read2_b32 v[1:2], v26 offset0:18 offset1:19
	ds_read_b32 v27, v26 offset:80
	ds_read2_b32 v[18:19], v18 offset0:19 offset1:181
	ds_read2_b32 v[20:21], v20 offset0:89 offset1:251
	s_load_dwordx2 s[0:1], s[4:5], 0x18
	s_mov_b32 s6, 0x3fb8aa3b
	s_waitcnt lgkmcnt(0)
	v_add_u32_e32 v1, v27, v1
	v_mov_b32_e32 v0, 0xad2febff
	v_add3_u32 v1, v1, v19, v20
	v_add3_u32 v1, v1, v18, v21
	v_xor_b32_e32 v18, 1, v25
	v_mul_u32_u24_e32 v19, 18, v18
	v_mad_u32_u24 v18, v18, 18, v22
	v_cvt_f32_i32_e32 v1, v1
	v_lshl_add_u32 v22, v18, 2, v23
	v_cvt_f32_i32_e32 v18, v2
	v_lshlrev_b32_e32 v19, 2, v19
	v_fmac_f32_e32 v1, s0, v24
	v_add3_u32 v17, v17, v19, v23
	v_mul_f32_e32 v19, v1, v18
	v_mul_f32_e32 v19, s1, v19
	;; [unrolled: 1-line block ×3, first 2 shown]
	v_fma_f32 v23, v19, s6, -v20
	v_rndne_f32_e32 v24, v20
	v_fmac_f32_e32 v23, 0x32a5705f, v19
	v_sub_f32_e32 v20, v20, v24
	v_add_f32_e32 v20, v20, v23
	v_cvt_i32_f32_e32 v24, v24
	v_exp_f32_e32 v20, v20
	s_mov_b32 s7, 0xc2ce8ed0
	s_mov_b32 s8, 0x42b17218
	v_fma_f32 v1, v1, v18, v0
	v_ldexp_f32 v18, v20, v24
	v_cmp_ngt_f32_e32 vcc, s7, v19
	v_cndmask_b32_e32 v18, 0, v18, vcc
	v_cmp_nlt_f32_e32 vcc, s8, v19
	v_mov_b32_e32 v21, 0x7f800000
	s_mov_b32 s9, 0x2f800000
	v_cndmask_b32_e32 v18, v21, v18, vcc
	v_sub_u32_e32 v25, 0, v2
	v_add_u32_e32 v23, 0x200, v17
	s_mov_b32 s4, 0x4c957f2d
	s_mov_b32 s5, 0x5851f42d
	v_cvt_f32_i32_e32 v16, v16
	v_lshrrev_b32_e32 v19, 13, v14
	v_alignbit_b32 v20, v14, v13, 27
	v_xor_b32_e32 v19, v19, v20
	v_lshrrev_b32_e32 v20, 27, v14
	v_alignbit_b32 v19, v19, v19, v20
	v_cvt_f32_u32_e32 v19, v19
	v_mul_lo_u32 v24, v13, s5
	v_mul_lo_u32 v27, v14, s4
	v_mad_u64_u32 v[13:14], s[2:3], v13, s4, v[11:12]
	v_fma_f32 v18, v19, s9, -v18
	v_or_b32_e32 v1, v18, v1
	v_cmp_gt_i32_e32 vcc, 0, v1
	v_cndmask_b32_e32 v1, v2, v25, vcc
	ds_write_b32 v26, v1 offset:76
	s_waitcnt lgkmcnt(0)
	s_barrier
	ds_read2_b32 v[1:2], v22 offset0:18 offset1:19
	ds_read_b32 v25, v22 offset:80
	ds_read2_b32 v[17:18], v17 offset0:19 offset1:181
	ds_read2_b32 v[19:20], v23 offset0:89 offset1:251
	v_add3_u32 v14, v27, v14, v24
	s_waitcnt lgkmcnt(2)
	v_add_u32_e32 v1, v25, v1
	s_waitcnt lgkmcnt(0)
	v_add3_u32 v1, v1, v18, v19
	v_add3_u32 v1, v1, v17, v20
	v_cvt_f32_i32_e32 v1, v1
	v_cvt_f32_i32_e32 v17, v2
	v_mul_lo_u32 v18, v13, s5
	v_mul_lo_u32 v19, v14, s4
	v_fmac_f32_e32 v1, s0, v16
	v_mul_f32_e32 v20, v1, v17
	v_fmac_f32_e32 v0, v1, v17
	v_mad_u64_u32 v[16:17], s[2:3], v13, s4, v[11:12]
	v_lshrrev_b32_e32 v1, 13, v14
	v_alignbit_b32 v13, v14, v13, 27
	v_xor_b32_e32 v1, v1, v13
	v_mul_f32_e32 v13, s1, v20
	v_mul_f32_e32 v20, 0x3fb8aa3b, v13
	v_fma_f32 v23, v13, s6, -v20
	v_rndne_f32_e32 v24, v20
	v_fmac_f32_e32 v23, 0x32a5705f, v13
	v_sub_f32_e32 v20, v20, v24
	v_add_f32_e32 v20, v20, v23
	v_exp_f32_e32 v20, v20
	v_cvt_i32_f32_e32 v23, v24
	v_lshrrev_b32_e32 v14, 27, v14
	v_alignbit_b32 v1, v1, v1, v14
	v_cvt_f32_u32_e32 v1, v1
	v_ldexp_f32 v14, v20, v23
	v_cmp_ngt_f32_e32 vcc, s7, v13
	v_cndmask_b32_e32 v14, 0, v14, vcc
	v_cmp_nlt_f32_e32 vcc, s8, v13
	v_cndmask_b32_e32 v13, v21, v14, vcc
	v_fma_f32 v1, v1, s9, -v13
	v_or_b32_e32 v0, v1, v0
	v_sub_u32_e32 v1, 0, v2
	v_cmp_gt_i32_e32 vcc, 0, v0
	v_cndmask_b32_e32 v0, v2, v1, vcc
	ds_write_b32 v22, v0 offset:76
	s_waitcnt lgkmcnt(0)
	s_barrier
	ds_read2_b32 v[0:1], v15 offset0:199 offset1:217
	v_add3_u32 v17, v19, v17, v18
	s_waitcnt lgkmcnt(0)
	global_store_dword v[3:4], v0, off
	global_store_dword v[5:6], v1, off
	global_store_dwordx2 v[7:8], v[16:17], off
	global_store_dwordx2 v[9:10], v[11:12], off
	s_endpgm
.LBB1_31:
	v_cmp_eq_u32_e32 vcc, 3, v1
                                        ; implicit-def: $vgpr10
                                        ; implicit-def: $vgpr9
	s_and_saveexec_b64 s[12:13], vcc
	s_cbranch_execz .LBB1_33
; %bb.32:
	v_add3_u32 v9, v25, s18, 8
	v_mul_lo_u32 v9, v9, s16
	s_add_i32 s14, s16, -8
	s_cmp_eq_u32 s18, s14
	s_cselect_b64 vcc, -1, 0
	s_mov_b64 s[2:3], exec
	v_cndmask_b32_e32 v10, v9, v13, vcc
	v_add_u32_e32 v9, 0x558, v17
.LBB1_33:
	s_or_b64 exec, exec, s[12:13]
	s_and_b64 s[2:3], s[2:3], exec
                                        ; implicit-def: $vgpr25
	s_andn2_saveexec_b64 s[10:11], s[10:11]
	s_cbranch_execz .LBB1_2
.LBB1_34:
	v_cmp_eq_u32_e32 vcc, 0, v1
	s_mov_b64 s[12:13], s[2:3]
                                        ; implicit-def: $vgpr10
                                        ; implicit-def: $vgpr9
	s_and_saveexec_b64 s[14:15], vcc
; %bb.35:
	s_cmp_eq_u32 s18, 0
	s_cselect_b32 s12, s16, s18
	v_add3_u32 v9, v25, s12, -1
	v_mul_lo_u32 v10, v9, s16
	v_add_u32_e32 v9, 0x2d0, v17
	s_or_b64 s[12:13], s[2:3], exec
; %bb.36:
	s_or_b64 exec, exec, s[14:15]
	s_andn2_b64 s[2:3], s[2:3], exec
	s_and_b64 s[12:13], s[12:13], exec
	s_or_b64 s[2:3], s[2:3], s[12:13]
	s_or_b64 exec, exec, s[10:11]
	s_and_saveexec_b64 s[10:11], s[2:3]
	s_cbranch_execnz .LBB1_3
	s_branch .LBB1_4
.LBB1_37:
	s_branch .LBB1_15
.LBB1_38:
	s_branch .LBB1_28
	.section	.rodata,"a",@progbits
	.p2align	6, 0x0
	.amdhsa_kernel _Z17kernel_metropolisiiPiPKiffPmS2_i
		.amdhsa_group_segment_fixed_size 4320
		.amdhsa_private_segment_fixed_size 0
		.amdhsa_kernarg_size 312
		.amdhsa_user_sgpr_count 6
		.amdhsa_user_sgpr_private_segment_buffer 1
		.amdhsa_user_sgpr_dispatch_ptr 0
		.amdhsa_user_sgpr_queue_ptr 0
		.amdhsa_user_sgpr_kernarg_segment_ptr 1
		.amdhsa_user_sgpr_dispatch_id 0
		.amdhsa_user_sgpr_flat_scratch_init 0
		.amdhsa_user_sgpr_private_segment_size 0
		.amdhsa_uses_dynamic_stack 0
		.amdhsa_system_sgpr_private_segment_wavefront_offset 0
		.amdhsa_system_sgpr_workgroup_id_x 1
		.amdhsa_system_sgpr_workgroup_id_y 1
		.amdhsa_system_sgpr_workgroup_id_z 1
		.amdhsa_system_sgpr_workgroup_info 0
		.amdhsa_system_vgpr_workitem_id 2
		.amdhsa_next_free_vgpr 29
		.amdhsa_next_free_sgpr 61
		.amdhsa_reserve_vcc 1
		.amdhsa_reserve_flat_scratch 0
		.amdhsa_float_round_mode_32 0
		.amdhsa_float_round_mode_16_64 0
		.amdhsa_float_denorm_mode_32 3
		.amdhsa_float_denorm_mode_16_64 3
		.amdhsa_dx10_clamp 1
		.amdhsa_ieee_mode 1
		.amdhsa_fp16_overflow 0
		.amdhsa_exception_fp_ieee_invalid_op 0
		.amdhsa_exception_fp_denorm_src 0
		.amdhsa_exception_fp_ieee_div_zero 0
		.amdhsa_exception_fp_ieee_overflow 0
		.amdhsa_exception_fp_ieee_underflow 0
		.amdhsa_exception_fp_ieee_inexact 0
		.amdhsa_exception_int_div_zero 0
	.end_amdhsa_kernel
	.text
.Lfunc_end1:
	.size	_Z17kernel_metropolisiiPiPKiffPmS2_i, .Lfunc_end1-_Z17kernel_metropolisiiPiPKiffPmS2_i
                                        ; -- End function
	.set _Z17kernel_metropolisiiPiPKiffPmS2_i.num_vgpr, 29
	.set _Z17kernel_metropolisiiPiPKiffPmS2_i.num_agpr, 0
	.set _Z17kernel_metropolisiiPiPKiffPmS2_i.numbered_sgpr, 19
	.set _Z17kernel_metropolisiiPiPKiffPmS2_i.num_named_barrier, 0
	.set _Z17kernel_metropolisiiPiPKiffPmS2_i.private_seg_size, 0
	.set _Z17kernel_metropolisiiPiPKiffPmS2_i.uses_vcc, 1
	.set _Z17kernel_metropolisiiPiPKiffPmS2_i.uses_flat_scratch, 0
	.set _Z17kernel_metropolisiiPiPKiffPmS2_i.has_dyn_sized_stack, 0
	.set _Z17kernel_metropolisiiPiPKiffPmS2_i.has_recursion, 0
	.set _Z17kernel_metropolisiiPiPKiffPmS2_i.has_indirect_call, 0
	.section	.AMDGPU.csdata,"",@progbits
; Kernel info:
; codeLenInByte = 2440
; TotalNumSgprs: 23
; NumVgprs: 29
; ScratchSize: 0
; MemoryBound: 0
; FloatMode: 240
; IeeeMode: 1
; LDSByteSize: 4320 bytes/workgroup (compile time only)
; SGPRBlocks: 8
; VGPRBlocks: 7
; NumSGPRsForWavesPerEU: 65
; NumVGPRsForWavesPerEU: 29
; Occupancy: 8
; WaveLimiterHint : 0
; COMPUTE_PGM_RSRC2:SCRATCH_EN: 0
; COMPUTE_PGM_RSRC2:USER_SGPR: 6
; COMPUTE_PGM_RSRC2:TRAP_HANDLER: 0
; COMPUTE_PGM_RSRC2:TGID_X_EN: 1
; COMPUTE_PGM_RSRC2:TGID_Y_EN: 1
; COMPUTE_PGM_RSRC2:TGID_Z_EN: 1
; COMPUTE_PGM_RSRC2:TIDIG_COMP_CNT: 2
	.text
	.protected	_Z26kernel_reset_random_gpupcgPiiPmS0_ ; -- Begin function _Z26kernel_reset_random_gpupcgPiiPmS0_
	.globl	_Z26kernel_reset_random_gpupcgPiiPmS0_
	.p2align	8
	.type	_Z26kernel_reset_random_gpupcgPiiPmS0_,@function
_Z26kernel_reset_random_gpupcgPiiPmS0_: ; @_Z26kernel_reset_random_gpupcgPiiPmS0_
; %bb.0:
	s_load_dword s0, s[4:5], 0x2c
	s_load_dword s2, s[4:5], 0x8
	s_waitcnt lgkmcnt(0)
	s_and_b32 s0, s0, 0xffff
	s_ashr_i32 s1, s2, 31
	s_mul_i32 s6, s6, s0
	s_lshr_b32 s0, s1, 30
	s_add_i32 s0, s2, s0
	v_add_u32_e32 v6, s6, v0
	s_ashr_i32 s0, s0, 2
	v_cmp_gt_i32_e32 vcc, s0, v6
	s_and_saveexec_b64 s[6:7], vcc
	s_cbranch_execz .LBB2_2
; %bb.1:
	s_load_dwordx2 s[6:7], s[4:5], 0x0
	s_load_dwordx4 s[8:11], s[4:5], 0x10
	v_ashrrev_i32_e32 v7, 31, v6
	v_lshlrev_b64 v[0:1], 3, v[6:7]
	s_mov_b32 s3, 0x4c957f2d
	v_lshlrev_b64 v[6:7], 2, v[6:7]
	s_waitcnt lgkmcnt(0)
	v_add_co_u32_e32 v2, vcc, s8, v0
	v_mov_b32_e32 v3, s9
	v_addc_co_u32_e32 v3, vcc, v3, v1, vcc
	v_add_co_u32_e32 v0, vcc, s10, v0
	v_mov_b32_e32 v4, s11
	v_addc_co_u32_e32 v1, vcc, v4, v1, vcc
	global_load_dwordx2 v[8:9], v[2:3], off
	global_load_dwordx2 v[4:5], v[0:1], off
	s_mov_b32 s8, 0x5851f42d
	s_mov_b32 s9, 0x2f800000
	v_add_co_u32_e32 v6, vcc, s6, v6
	s_ashr_i32 s1, s0, 31
	s_lshl_b64 s[0:1], s[0:1], 2
	s_waitcnt vmcnt(1)
	v_mul_lo_u32 v12, v8, s8
	s_waitcnt vmcnt(0)
	v_mad_u64_u32 v[10:11], s[4:5], v8, s3, v[4:5]
	v_mul_lo_u32 v13, v9, s3
	v_alignbit_b32 v8, v9, v8, 27
	v_add3_u32 v11, v13, v11, v12
	v_lshrrev_b32_e32 v12, 13, v9
	v_xor_b32_e32 v8, v12, v8
	v_lshrrev_b32_e32 v9, 27, v9
	v_alignbit_b32 v8, v8, v8, v9
	v_cvt_f32_u32_e32 v8, v8
	v_mov_b32_e32 v9, s7
	v_addc_co_u32_e32 v7, vcc, v9, v7, vcc
	v_fma_f32 v8, v8, s9, 0.5
	v_cvt_i32_f32_e32 v8, v8
	v_mul_lo_u32 v12, v10, s8
	v_mul_lo_u32 v13, v11, s3
	v_cvt_f32_i32_e32 v8, v8
	v_fma_f32 v8, v8, -2.0, 1.0
	v_cvt_i32_f32_e32 v8, v8
	global_store_dword v[6:7], v8, off
	v_mad_u64_u32 v[8:9], s[4:5], v10, s3, v[4:5]
	v_alignbit_b32 v10, v11, v10, 27
	v_add3_u32 v12, v13, v9, v12
	v_lshrrev_b32_e32 v9, 13, v11
	v_xor_b32_e32 v9, v9, v10
	v_lshrrev_b32_e32 v10, 27, v11
	v_alignbit_b32 v9, v9, v9, v10
	v_cvt_f32_u32_e32 v9, v9
	v_mov_b32_e32 v10, s1
	v_mul_lo_u32 v13, v8, s8
	v_fma_f32 v9, v9, s9, 0.5
	v_cvt_i32_f32_e32 v9, v9
	v_cvt_f32_i32_e32 v9, v9
	v_fma_f32 v9, v9, -2.0, 1.0
	v_cvt_i32_f32_e32 v11, v9
	v_add_co_u32_e32 v9, vcc, s0, v6
	v_addc_co_u32_e32 v10, vcc, v7, v10, vcc
	global_store_dword v[9:10], v11, off
	v_mul_lo_u32 v11, v12, s3
	v_mad_u64_u32 v[9:10], s[0:1], v8, s3, v[4:5]
	v_alignbit_b32 v8, v12, v8, 27
	s_lshr_b32 s0, s2, 31
	v_add3_u32 v13, v11, v10, v13
	v_lshrrev_b32_e32 v10, 13, v12
	v_xor_b32_e32 v8, v10, v8
	v_lshrrev_b32_e32 v10, 27, v12
	v_alignbit_b32 v8, v8, v8, v10
	v_cvt_f32_u32_e32 v8, v8
	s_add_i32 s0, s2, s0
	s_ashr_i32 s0, s0, 1
	s_ashr_i32 s1, s0, 31
	v_fma_f32 v8, v8, s9, 0.5
	v_cvt_i32_f32_e32 v8, v8
	s_lshl_b64 s[0:1], s[0:1], 2
	v_add_co_u32_e32 v10, vcc, s0, v6
	v_cvt_f32_i32_e32 v8, v8
	v_mov_b32_e32 v11, s1
	v_addc_co_u32_e32 v11, vcc, v7, v11, vcc
	v_fma_f32 v8, v8, -2.0, 1.0
	v_cvt_i32_f32_e32 v8, v8
	v_mul_lo_u32 v12, v9, s8
	global_store_dword v[10:11], v8, off
	v_mul_lo_u32 v8, v13, s3
	v_mad_u64_u32 v[10:11], s[0:1], v9, s3, v[4:5]
	v_alignbit_b32 v9, v13, v9, 27
	s_mul_i32 s0, s2, 3
	v_add3_u32 v11, v8, v11, v12
	v_lshrrev_b32_e32 v8, 13, v13
	v_xor_b32_e32 v8, v8, v9
	v_lshrrev_b32_e32 v9, 27, v13
	v_alignbit_b32 v8, v8, v8, v9
	v_cvt_f32_u32_e32 v8, v8
	s_ashr_i32 s1, s0, 31
	s_lshr_b32 s1, s1, 30
	s_add_i32 s0, s0, s1
	v_fma_f32 v8, v8, s9, 0.5
	v_cvt_i32_f32_e32 v8, v8
	s_ashr_i32 s0, s0, 2
	s_ashr_i32 s1, s0, 31
	s_lshl_b64 s[0:1], s[0:1], 2
	v_cvt_f32_i32_e32 v8, v8
	v_add_co_u32_e32 v6, vcc, s0, v6
	v_mov_b32_e32 v9, s1
	v_fma_f32 v8, v8, -2.0, 1.0
	v_cvt_i32_f32_e32 v8, v8
	v_addc_co_u32_e32 v7, vcc, v7, v9, vcc
	global_store_dword v[6:7], v8, off
	global_store_dwordx2 v[2:3], v[10:11], off
	global_store_dwordx2 v[0:1], v[4:5], off
.LBB2_2:
	s_endpgm
	.section	.rodata,"a",@progbits
	.p2align	6, 0x0
	.amdhsa_kernel _Z26kernel_reset_random_gpupcgPiiPmS0_
		.amdhsa_group_segment_fixed_size 0
		.amdhsa_private_segment_fixed_size 0
		.amdhsa_kernarg_size 288
		.amdhsa_user_sgpr_count 6
		.amdhsa_user_sgpr_private_segment_buffer 1
		.amdhsa_user_sgpr_dispatch_ptr 0
		.amdhsa_user_sgpr_queue_ptr 0
		.amdhsa_user_sgpr_kernarg_segment_ptr 1
		.amdhsa_user_sgpr_dispatch_id 0
		.amdhsa_user_sgpr_flat_scratch_init 0
		.amdhsa_user_sgpr_private_segment_size 0
		.amdhsa_uses_dynamic_stack 0
		.amdhsa_system_sgpr_private_segment_wavefront_offset 0
		.amdhsa_system_sgpr_workgroup_id_x 1
		.amdhsa_system_sgpr_workgroup_id_y 0
		.amdhsa_system_sgpr_workgroup_id_z 0
		.amdhsa_system_sgpr_workgroup_info 0
		.amdhsa_system_vgpr_workitem_id 0
		.amdhsa_next_free_vgpr 14
		.amdhsa_next_free_sgpr 12
		.amdhsa_reserve_vcc 1
		.amdhsa_reserve_flat_scratch 0
		.amdhsa_float_round_mode_32 0
		.amdhsa_float_round_mode_16_64 0
		.amdhsa_float_denorm_mode_32 3
		.amdhsa_float_denorm_mode_16_64 3
		.amdhsa_dx10_clamp 1
		.amdhsa_ieee_mode 1
		.amdhsa_fp16_overflow 0
		.amdhsa_exception_fp_ieee_invalid_op 0
		.amdhsa_exception_fp_denorm_src 0
		.amdhsa_exception_fp_ieee_div_zero 0
		.amdhsa_exception_fp_ieee_overflow 0
		.amdhsa_exception_fp_ieee_underflow 0
		.amdhsa_exception_fp_ieee_inexact 0
		.amdhsa_exception_int_div_zero 0
	.end_amdhsa_kernel
	.text
.Lfunc_end2:
	.size	_Z26kernel_reset_random_gpupcgPiiPmS0_, .Lfunc_end2-_Z26kernel_reset_random_gpupcgPiiPmS0_
                                        ; -- End function
	.set _Z26kernel_reset_random_gpupcgPiiPmS0_.num_vgpr, 14
	.set _Z26kernel_reset_random_gpupcgPiiPmS0_.num_agpr, 0
	.set _Z26kernel_reset_random_gpupcgPiiPmS0_.numbered_sgpr, 12
	.set _Z26kernel_reset_random_gpupcgPiiPmS0_.num_named_barrier, 0
	.set _Z26kernel_reset_random_gpupcgPiiPmS0_.private_seg_size, 0
	.set _Z26kernel_reset_random_gpupcgPiiPmS0_.uses_vcc, 1
	.set _Z26kernel_reset_random_gpupcgPiiPmS0_.uses_flat_scratch, 0
	.set _Z26kernel_reset_random_gpupcgPiiPmS0_.has_dyn_sized_stack, 0
	.set _Z26kernel_reset_random_gpupcgPiiPmS0_.has_recursion, 0
	.set _Z26kernel_reset_random_gpupcgPiiPmS0_.has_indirect_call, 0
	.section	.AMDGPU.csdata,"",@progbits
; Kernel info:
; codeLenInByte = 700
; TotalNumSgprs: 16
; NumVgprs: 14
; ScratchSize: 0
; MemoryBound: 0
; FloatMode: 240
; IeeeMode: 1
; LDSByteSize: 0 bytes/workgroup (compile time only)
; SGPRBlocks: 1
; VGPRBlocks: 3
; NumSGPRsForWavesPerEU: 16
; NumVGPRsForWavesPerEU: 14
; Occupancy: 10
; WaveLimiterHint : 0
; COMPUTE_PGM_RSRC2:SCRATCH_EN: 0
; COMPUTE_PGM_RSRC2:USER_SGPR: 6
; COMPUTE_PGM_RSRC2:TRAP_HANDLER: 0
; COMPUTE_PGM_RSRC2:TGID_X_EN: 1
; COMPUTE_PGM_RSRC2:TGID_Y_EN: 0
; COMPUTE_PGM_RSRC2:TGID_Z_EN: 0
; COMPUTE_PGM_RSRC2:TIDIG_COMP_CNT: 0
	.section	.text._Z12kernel_resetIiEvPT_iS0_,"axG",@progbits,_Z12kernel_resetIiEvPT_iS0_,comdat
	.protected	_Z12kernel_resetIiEvPT_iS0_ ; -- Begin function _Z12kernel_resetIiEvPT_iS0_
	.globl	_Z12kernel_resetIiEvPT_iS0_
	.p2align	8
	.type	_Z12kernel_resetIiEvPT_iS0_,@function
_Z12kernel_resetIiEvPT_iS0_:            ; @_Z12kernel_resetIiEvPT_iS0_
; %bb.0:
	s_load_dword s2, s[4:5], 0x1c
	s_load_dwordx2 s[0:1], s[4:5], 0x8
	s_waitcnt lgkmcnt(0)
	s_and_b32 s2, s2, 0xffff
	s_mul_i32 s6, s6, s2
	v_add_u32_e32 v0, s6, v0
	v_cmp_gt_i32_e32 vcc, s0, v0
	s_and_saveexec_b64 s[2:3], vcc
	s_cbranch_execz .LBB3_2
; %bb.1:
	s_load_dwordx2 s[2:3], s[4:5], 0x0
	v_ashrrev_i32_e32 v1, 31, v0
	v_lshlrev_b64 v[0:1], 2, v[0:1]
	s_waitcnt lgkmcnt(0)
	v_mov_b32_e32 v2, s3
	v_add_co_u32_e32 v0, vcc, s2, v0
	v_addc_co_u32_e32 v1, vcc, v2, v1, vcc
	v_mov_b32_e32 v2, s1
	global_store_dword v[0:1], v2, off
.LBB3_2:
	s_endpgm
	.section	.rodata,"a",@progbits
	.p2align	6, 0x0
	.amdhsa_kernel _Z12kernel_resetIiEvPT_iS0_
		.amdhsa_group_segment_fixed_size 0
		.amdhsa_private_segment_fixed_size 0
		.amdhsa_kernarg_size 272
		.amdhsa_user_sgpr_count 6
		.amdhsa_user_sgpr_private_segment_buffer 1
		.amdhsa_user_sgpr_dispatch_ptr 0
		.amdhsa_user_sgpr_queue_ptr 0
		.amdhsa_user_sgpr_kernarg_segment_ptr 1
		.amdhsa_user_sgpr_dispatch_id 0
		.amdhsa_user_sgpr_flat_scratch_init 0
		.amdhsa_user_sgpr_private_segment_size 0
		.amdhsa_uses_dynamic_stack 0
		.amdhsa_system_sgpr_private_segment_wavefront_offset 0
		.amdhsa_system_sgpr_workgroup_id_x 1
		.amdhsa_system_sgpr_workgroup_id_y 0
		.amdhsa_system_sgpr_workgroup_id_z 0
		.amdhsa_system_sgpr_workgroup_info 0
		.amdhsa_system_vgpr_workitem_id 0
		.amdhsa_next_free_vgpr 3
		.amdhsa_next_free_sgpr 7
		.amdhsa_reserve_vcc 1
		.amdhsa_reserve_flat_scratch 0
		.amdhsa_float_round_mode_32 0
		.amdhsa_float_round_mode_16_64 0
		.amdhsa_float_denorm_mode_32 3
		.amdhsa_float_denorm_mode_16_64 3
		.amdhsa_dx10_clamp 1
		.amdhsa_ieee_mode 1
		.amdhsa_fp16_overflow 0
		.amdhsa_exception_fp_ieee_invalid_op 0
		.amdhsa_exception_fp_denorm_src 0
		.amdhsa_exception_fp_ieee_div_zero 0
		.amdhsa_exception_fp_ieee_overflow 0
		.amdhsa_exception_fp_ieee_underflow 0
		.amdhsa_exception_fp_ieee_inexact 0
		.amdhsa_exception_int_div_zero 0
	.end_amdhsa_kernel
	.section	.text._Z12kernel_resetIiEvPT_iS0_,"axG",@progbits,_Z12kernel_resetIiEvPT_iS0_,comdat
.Lfunc_end3:
	.size	_Z12kernel_resetIiEvPT_iS0_, .Lfunc_end3-_Z12kernel_resetIiEvPT_iS0_
                                        ; -- End function
	.set _Z12kernel_resetIiEvPT_iS0_.num_vgpr, 3
	.set _Z12kernel_resetIiEvPT_iS0_.num_agpr, 0
	.set _Z12kernel_resetIiEvPT_iS0_.numbered_sgpr, 7
	.set _Z12kernel_resetIiEvPT_iS0_.num_named_barrier, 0
	.set _Z12kernel_resetIiEvPT_iS0_.private_seg_size, 0
	.set _Z12kernel_resetIiEvPT_iS0_.uses_vcc, 1
	.set _Z12kernel_resetIiEvPT_iS0_.uses_flat_scratch, 0
	.set _Z12kernel_resetIiEvPT_iS0_.has_dyn_sized_stack, 0
	.set _Z12kernel_resetIiEvPT_iS0_.has_recursion, 0
	.set _Z12kernel_resetIiEvPT_iS0_.has_indirect_call, 0
	.section	.AMDGPU.csdata,"",@progbits
; Kernel info:
; codeLenInByte = 100
; TotalNumSgprs: 11
; NumVgprs: 3
; ScratchSize: 0
; MemoryBound: 0
; FloatMode: 240
; IeeeMode: 1
; LDSByteSize: 0 bytes/workgroup (compile time only)
; SGPRBlocks: 1
; VGPRBlocks: 0
; NumSGPRsForWavesPerEU: 11
; NumVGPRsForWavesPerEU: 3
; Occupancy: 10
; WaveLimiterHint : 0
; COMPUTE_PGM_RSRC2:SCRATCH_EN: 0
; COMPUTE_PGM_RSRC2:USER_SGPR: 6
; COMPUTE_PGM_RSRC2:TRAP_HANDLER: 0
; COMPUTE_PGM_RSRC2:TGID_X_EN: 1
; COMPUTE_PGM_RSRC2:TGID_Y_EN: 0
; COMPUTE_PGM_RSRC2:TGID_Z_EN: 0
; COMPUTE_PGM_RSRC2:TIDIG_COMP_CNT: 0
	.section	.text._Z12kernel_resetIfEvPT_iS0_,"axG",@progbits,_Z12kernel_resetIfEvPT_iS0_,comdat
	.protected	_Z12kernel_resetIfEvPT_iS0_ ; -- Begin function _Z12kernel_resetIfEvPT_iS0_
	.globl	_Z12kernel_resetIfEvPT_iS0_
	.p2align	8
	.type	_Z12kernel_resetIfEvPT_iS0_,@function
_Z12kernel_resetIfEvPT_iS0_:            ; @_Z12kernel_resetIfEvPT_iS0_
; %bb.0:
	s_load_dword s2, s[4:5], 0x1c
	s_load_dwordx2 s[0:1], s[4:5], 0x8
	s_waitcnt lgkmcnt(0)
	s_and_b32 s2, s2, 0xffff
	s_mul_i32 s6, s6, s2
	v_add_u32_e32 v0, s6, v0
	v_cmp_gt_i32_e32 vcc, s0, v0
	s_and_saveexec_b64 s[2:3], vcc
	s_cbranch_execz .LBB4_2
; %bb.1:
	s_load_dwordx2 s[2:3], s[4:5], 0x0
	v_ashrrev_i32_e32 v1, 31, v0
	v_lshlrev_b64 v[0:1], 2, v[0:1]
	s_waitcnt lgkmcnt(0)
	v_mov_b32_e32 v2, s3
	v_add_co_u32_e32 v0, vcc, s2, v0
	v_addc_co_u32_e32 v1, vcc, v2, v1, vcc
	v_mov_b32_e32 v2, s1
	global_store_dword v[0:1], v2, off
.LBB4_2:
	s_endpgm
	.section	.rodata,"a",@progbits
	.p2align	6, 0x0
	.amdhsa_kernel _Z12kernel_resetIfEvPT_iS0_
		.amdhsa_group_segment_fixed_size 0
		.amdhsa_private_segment_fixed_size 0
		.amdhsa_kernarg_size 272
		.amdhsa_user_sgpr_count 6
		.amdhsa_user_sgpr_private_segment_buffer 1
		.amdhsa_user_sgpr_dispatch_ptr 0
		.amdhsa_user_sgpr_queue_ptr 0
		.amdhsa_user_sgpr_kernarg_segment_ptr 1
		.amdhsa_user_sgpr_dispatch_id 0
		.amdhsa_user_sgpr_flat_scratch_init 0
		.amdhsa_user_sgpr_private_segment_size 0
		.amdhsa_uses_dynamic_stack 0
		.amdhsa_system_sgpr_private_segment_wavefront_offset 0
		.amdhsa_system_sgpr_workgroup_id_x 1
		.amdhsa_system_sgpr_workgroup_id_y 0
		.amdhsa_system_sgpr_workgroup_id_z 0
		.amdhsa_system_sgpr_workgroup_info 0
		.amdhsa_system_vgpr_workitem_id 0
		.amdhsa_next_free_vgpr 3
		.amdhsa_next_free_sgpr 7
		.amdhsa_reserve_vcc 1
		.amdhsa_reserve_flat_scratch 0
		.amdhsa_float_round_mode_32 0
		.amdhsa_float_round_mode_16_64 0
		.amdhsa_float_denorm_mode_32 3
		.amdhsa_float_denorm_mode_16_64 3
		.amdhsa_dx10_clamp 1
		.amdhsa_ieee_mode 1
		.amdhsa_fp16_overflow 0
		.amdhsa_exception_fp_ieee_invalid_op 0
		.amdhsa_exception_fp_denorm_src 0
		.amdhsa_exception_fp_ieee_div_zero 0
		.amdhsa_exception_fp_ieee_overflow 0
		.amdhsa_exception_fp_ieee_underflow 0
		.amdhsa_exception_fp_ieee_inexact 0
		.amdhsa_exception_int_div_zero 0
	.end_amdhsa_kernel
	.section	.text._Z12kernel_resetIfEvPT_iS0_,"axG",@progbits,_Z12kernel_resetIfEvPT_iS0_,comdat
.Lfunc_end4:
	.size	_Z12kernel_resetIfEvPT_iS0_, .Lfunc_end4-_Z12kernel_resetIfEvPT_iS0_
                                        ; -- End function
	.set _Z12kernel_resetIfEvPT_iS0_.num_vgpr, 3
	.set _Z12kernel_resetIfEvPT_iS0_.num_agpr, 0
	.set _Z12kernel_resetIfEvPT_iS0_.numbered_sgpr, 7
	.set _Z12kernel_resetIfEvPT_iS0_.num_named_barrier, 0
	.set _Z12kernel_resetIfEvPT_iS0_.private_seg_size, 0
	.set _Z12kernel_resetIfEvPT_iS0_.uses_vcc, 1
	.set _Z12kernel_resetIfEvPT_iS0_.uses_flat_scratch, 0
	.set _Z12kernel_resetIfEvPT_iS0_.has_dyn_sized_stack, 0
	.set _Z12kernel_resetIfEvPT_iS0_.has_recursion, 0
	.set _Z12kernel_resetIfEvPT_iS0_.has_indirect_call, 0
	.section	.AMDGPU.csdata,"",@progbits
; Kernel info:
; codeLenInByte = 100
; TotalNumSgprs: 11
; NumVgprs: 3
; ScratchSize: 0
; MemoryBound: 0
; FloatMode: 240
; IeeeMode: 1
; LDSByteSize: 0 bytes/workgroup (compile time only)
; SGPRBlocks: 1
; VGPRBlocks: 0
; NumSGPRsForWavesPerEU: 11
; NumVGPRsForWavesPerEU: 3
; Occupancy: 10
; WaveLimiterHint : 0
; COMPUTE_PGM_RSRC2:SCRATCH_EN: 0
; COMPUTE_PGM_RSRC2:USER_SGPR: 6
; COMPUTE_PGM_RSRC2:TRAP_HANDLER: 0
; COMPUTE_PGM_RSRC2:TGID_X_EN: 1
; COMPUTE_PGM_RSRC2:TGID_Y_EN: 0
; COMPUTE_PGM_RSRC2:TGID_Z_EN: 0
; COMPUTE_PGM_RSRC2:TIDIG_COMP_CNT: 0
	.section	.text._Z16kernel_redenergyIfEvPKiiPT_S1_f,"axG",@progbits,_Z16kernel_redenergyIfEvPKiiPT_S1_f,comdat
	.protected	_Z16kernel_redenergyIfEvPKiiPT_S1_f ; -- Begin function _Z16kernel_redenergyIfEvPKiiPT_S1_f
	.globl	_Z16kernel_redenergyIfEvPKiiPT_S1_f
	.p2align	8
	.type	_Z16kernel_redenergyIfEvPKiiPT_S1_f,@function
_Z16kernel_redenergyIfEvPKiiPT_S1_f:    ; @_Z16kernel_redenergyIfEvPKiiPT_S1_f
; %bb.0:
	s_load_dwordx2 s[10:11], s[4:5], 0x34
	s_load_dwordx2 s[12:13], s[4:5], 0x0
	s_load_dword s14, s[4:5], 0x8
	s_load_dwordx4 s[0:3], s[4:5], 0x10
	s_load_dword s15, s[4:5], 0x20
	s_waitcnt lgkmcnt(0)
	s_and_b32 s4, s11, 0xffff
	s_mul_i32 s8, s8, s4
	v_add_u32_e32 v13, s8, v2
	v_mul_lo_u32 v11, v13, s14
	s_lshr_b32 s5, s10, 16
	s_mul_i32 s7, s7, s5
	v_add_u32_e32 v3, s7, v1
	v_add_u32_e32 v4, v11, v3
	v_mul_lo_u32 v9, v4, s14
	s_and_b32 s7, s10, 0xffff
	s_mul_i32 s6, s6, s7
	v_add_u32_e32 v4, s6, v0
	v_add_u32_e32 v5, v9, v4
	v_ashrrev_i32_e32 v6, 31, v5
	v_lshlrev_b64 v[5:6], 2, v[5:6]
	v_mov_b32_e32 v15, s13
	v_add_co_u32_e32 v7, vcc, s12, v5
	v_addc_co_u32_e32 v8, vcc, v15, v6, vcc
	v_add_u32_e32 v10, 1, v4
	v_cmp_gt_i32_e32 vcc, s14, v10
	v_cndmask_b32_e32 v10, 0, v10, vcc
	v_add_u32_e32 v9, v9, v10
	v_ashrrev_i32_e32 v10, 31, v9
	v_lshlrev_b64 v[9:10], 2, v[9:10]
	v_add_u32_e32 v12, 1, v3
	v_add_co_u32_e32 v9, vcc, s12, v9
	v_addc_co_u32_e32 v10, vcc, v15, v10, vcc
	v_cmp_gt_i32_e32 vcc, s14, v12
	v_cndmask_b32_e32 v12, 0, v12, vcc
	v_add_u32_e32 v11, v12, v11
	v_mad_u64_u32 v[11:12], s[8:9], v11, s14, v[4:5]
	v_add_u32_e32 v12, 1, v13
	v_cmp_gt_i32_e32 vcc, s14, v12
	v_cndmask_b32_e32 v12, 0, v12, vcc
	v_mad_u64_u32 v[13:14], s[8:9], v12, s14, v[3:4]
	v_ashrrev_i32_e32 v12, 31, v11
	v_lshlrev_b64 v[11:12], 2, v[11:12]
	v_mad_u64_u32 v[3:4], s[8:9], v13, s14, v[4:5]
	v_add_co_u32_e32 v11, vcc, s12, v11
	v_ashrrev_i32_e32 v4, 31, v3
	v_lshlrev_b64 v[3:4], 2, v[3:4]
	v_addc_co_u32_e32 v12, vcc, v15, v12, vcc
	v_add_co_u32_e32 v3, vcc, s12, v3
	v_addc_co_u32_e32 v4, vcc, v15, v4, vcc
	global_load_dword v13, v[7:8], off
	global_load_dword v14, v[9:10], off
	;; [unrolled: 1-line block ×4, first 2 shown]
	v_mov_b32_e32 v4, s3
	v_add_co_u32_e32 v3, vcc, s2, v5
	v_addc_co_u32_e32 v4, vcc, v4, v6, vcc
	global_load_dword v3, v[3:4], off
	v_mbcnt_lo_u32_b32 v4, -1, 0
	v_mbcnt_hi_u32_b32 v7, -1, v4
	v_and_b32_e32 v8, 63, v7
	v_cmp_gt_u32_e32 vcc, 48, v8
	v_lshlrev_b32_e32 v1, 4, v1
	v_lshlrev_b32_e32 v2, 7, v2
	s_waitcnt vmcnt(4)
	v_cvt_f32_i32_e32 v5, v13
	s_waitcnt vmcnt(1)
	v_add3_u32 v4, v15, v14, v16
	v_cvt_f32_i32_e32 v9, v4
	s_waitcnt vmcnt(0)
	v_cvt_f32_i32_e32 v6, v3
	v_cndmask_b32_e64 v3, 0, 16, vcc
	v_add_lshl_u32 v3, v3, v7, 2
	v_cmp_gt_u32_e32 vcc, 56, v8
	v_fmac_f32_e32 v9, s15, v6
	v_mul_f32_e64 v4, v9, -v5
	ds_bpermute_b32 v6, v3, v4
	v_cndmask_b32_e64 v4, 0, 8, vcc
	v_add_lshl_u32 v4, v4, v7, 2
	v_cmp_gt_u32_e32 vcc, 60, v8
	s_waitcnt lgkmcnt(0)
	v_fma_f32 v6, v9, -v5, v6
	ds_bpermute_b32 v9, v4, v6
	v_cndmask_b32_e64 v5, 0, 4, vcc
	v_add_lshl_u32 v5, v5, v7, 2
	v_cmp_gt_u32_e32 vcc, 62, v8
	s_waitcnt lgkmcnt(0)
	v_add_f32_e32 v9, v6, v9
	ds_bpermute_b32 v10, v5, v9
	v_cndmask_b32_e64 v6, 0, 2, vcc
	v_add_lshl_u32 v6, v6, v7, 2
	v_cmp_ne_u32_e32 vcc, 63, v8
	v_addc_co_u32_e32 v8, vcc, 0, v7, vcc
	s_waitcnt lgkmcnt(0)
	v_add_f32_e32 v9, v9, v10
	ds_bpermute_b32 v10, v6, v9
	v_lshlrev_b32_e32 v8, 2, v8
	s_waitcnt lgkmcnt(0)
	v_add_f32_e32 v7, v9, v10
	ds_bpermute_b32 v11, v8, v7
	v_add_u32_e32 v10, v1, v0
	v_add_u32_e32 v9, v10, v2
	v_and_b32_e32 v10, 31, v10
	v_cmp_eq_u32_e32 vcc, 0, v10
	s_and_saveexec_b64 s[2:3], vcc
	s_cbranch_execz .LBB5_2
; %bb.1:
	s_waitcnt lgkmcnt(0)
	v_add_f32_e32 v7, v7, v11
	v_lshrrev_b32_e32 v11, 3, v9
	ds_write_b32 v11, v7
.LBB5_2:
	s_or_b64 exec, exec, s[2:3]
	s_mul_i32 s2, s5, s7
	s_mul_i32 s2, s2, s4
	s_lshr_b32 s2, s2, 5
	v_cmp_gt_u32_e32 vcc, s2, v9
	v_mov_b32_e32 v7, 0
	s_waitcnt lgkmcnt(0)
	s_barrier
	s_and_saveexec_b64 s[2:3], vcc
; %bb.3:
	v_lshlrev_b32_e32 v7, 2, v10
	ds_read_b32 v7, v7
; %bb.4:
	s_or_b64 exec, exec, s[2:3]
	v_cmp_gt_u32_e32 vcc, 32, v9
	s_and_saveexec_b64 s[2:3], vcc
	s_cbranch_execz .LBB5_6
; %bb.5:
	s_waitcnt lgkmcnt(0)
	ds_bpermute_b32 v3, v3, v7
	s_waitcnt lgkmcnt(0)
	v_add_f32_e32 v3, v7, v3
	ds_bpermute_b32 v4, v4, v3
	s_waitcnt lgkmcnt(0)
	v_add_f32_e32 v3, v3, v4
	;; [unrolled: 3-line block ×5, first 2 shown]
.LBB5_6:
	s_or_b64 exec, exec, s[2:3]
	v_add_u32_e32 v1, v2, v1
	v_or_b32_e32 v0, v1, v0
	v_cmp_eq_u32_e32 vcc, 0, v0
	s_and_saveexec_b64 s[2:3], vcc
	s_cbranch_execz .LBB5_12
; %bb.7:
	s_mov_b64 s[2:3], exec
	v_bfrev_b32_e32 v2, 1
.LBB5_8:                                ; =>This Inner Loop Header: Depth=1
	s_ff1_i32_b64 s4, s[2:3]
	s_waitcnt lgkmcnt(0)
	v_readlane_b32 s6, v7, s4
	s_lshl_b64 s[4:5], 1, s4
	s_andn2_b64 s[2:3], s[2:3], s[4:5]
	s_cmp_lg_u64 s[2:3], 0
	v_add_f32_e32 v2, s6, v2
	s_cbranch_scc1 .LBB5_8
; %bb.9:
	v_mbcnt_lo_u32_b32 v0, exec_lo, 0
	v_mbcnt_hi_u32_b32 v0, exec_hi, v0
	v_cmp_eq_u32_e32 vcc, 0, v0
	s_and_saveexec_b64 s[2:3], vcc
	s_xor_b64 s[2:3], exec, s[2:3]
	s_cbranch_execz .LBB5_12
; %bb.10:
	s_load_dword s4, s[0:1], 0x0
	s_mov_b64 s[2:3], 0
	v_mov_b32_e32 v3, 0
	s_waitcnt lgkmcnt(0)
	v_mov_b32_e32 v1, s4
.LBB5_11:                               ; =>This Inner Loop Header: Depth=1
	v_add_f32_e32 v0, v1, v2
	global_atomic_cmpswap v0, v3, v[0:1], s[0:1] glc
	s_waitcnt vmcnt(0)
	v_cmp_eq_u32_e32 vcc, v0, v1
	s_or_b64 s[2:3], vcc, s[2:3]
	v_mov_b32_e32 v1, v0
	s_andn2_b64 exec, exec, s[2:3]
	s_cbranch_execnz .LBB5_11
.LBB5_12:
	s_endpgm
	.section	.rodata,"a",@progbits
	.p2align	6, 0x0
	.amdhsa_kernel _Z16kernel_redenergyIfEvPKiiPT_S1_f
		.amdhsa_group_segment_fixed_size 128
		.amdhsa_private_segment_fixed_size 0
		.amdhsa_kernarg_size 296
		.amdhsa_user_sgpr_count 6
		.amdhsa_user_sgpr_private_segment_buffer 1
		.amdhsa_user_sgpr_dispatch_ptr 0
		.amdhsa_user_sgpr_queue_ptr 0
		.amdhsa_user_sgpr_kernarg_segment_ptr 1
		.amdhsa_user_sgpr_dispatch_id 0
		.amdhsa_user_sgpr_flat_scratch_init 0
		.amdhsa_user_sgpr_private_segment_size 0
		.amdhsa_uses_dynamic_stack 0
		.amdhsa_system_sgpr_private_segment_wavefront_offset 0
		.amdhsa_system_sgpr_workgroup_id_x 1
		.amdhsa_system_sgpr_workgroup_id_y 1
		.amdhsa_system_sgpr_workgroup_id_z 1
		.amdhsa_system_sgpr_workgroup_info 0
		.amdhsa_system_vgpr_workitem_id 2
		.amdhsa_next_free_vgpr 17
		.amdhsa_next_free_sgpr 16
		.amdhsa_reserve_vcc 1
		.amdhsa_reserve_flat_scratch 0
		.amdhsa_float_round_mode_32 0
		.amdhsa_float_round_mode_16_64 0
		.amdhsa_float_denorm_mode_32 3
		.amdhsa_float_denorm_mode_16_64 3
		.amdhsa_dx10_clamp 1
		.amdhsa_ieee_mode 1
		.amdhsa_fp16_overflow 0
		.amdhsa_exception_fp_ieee_invalid_op 0
		.amdhsa_exception_fp_denorm_src 0
		.amdhsa_exception_fp_ieee_div_zero 0
		.amdhsa_exception_fp_ieee_overflow 0
		.amdhsa_exception_fp_ieee_underflow 0
		.amdhsa_exception_fp_ieee_inexact 0
		.amdhsa_exception_int_div_zero 0
	.end_amdhsa_kernel
	.section	.text._Z16kernel_redenergyIfEvPKiiPT_S1_f,"axG",@progbits,_Z16kernel_redenergyIfEvPKiiPT_S1_f,comdat
.Lfunc_end5:
	.size	_Z16kernel_redenergyIfEvPKiiPT_S1_f, .Lfunc_end5-_Z16kernel_redenergyIfEvPKiiPT_S1_f
                                        ; -- End function
	.set _Z16kernel_redenergyIfEvPKiiPT_S1_f.num_vgpr, 17
	.set _Z16kernel_redenergyIfEvPKiiPT_S1_f.num_agpr, 0
	.set _Z16kernel_redenergyIfEvPKiiPT_S1_f.numbered_sgpr, 16
	.set _Z16kernel_redenergyIfEvPKiiPT_S1_f.num_named_barrier, 0
	.set _Z16kernel_redenergyIfEvPKiiPT_S1_f.private_seg_size, 0
	.set _Z16kernel_redenergyIfEvPKiiPT_S1_f.uses_vcc, 1
	.set _Z16kernel_redenergyIfEvPKiiPT_S1_f.uses_flat_scratch, 0
	.set _Z16kernel_redenergyIfEvPKiiPT_S1_f.has_dyn_sized_stack, 0
	.set _Z16kernel_redenergyIfEvPKiiPT_S1_f.has_recursion, 0
	.set _Z16kernel_redenergyIfEvPKiiPT_S1_f.has_indirect_call, 0
	.section	.AMDGPU.csdata,"",@progbits
; Kernel info:
; codeLenInByte = 912
; TotalNumSgprs: 20
; NumVgprs: 17
; ScratchSize: 0
; MemoryBound: 0
; FloatMode: 240
; IeeeMode: 1
; LDSByteSize: 128 bytes/workgroup (compile time only)
; SGPRBlocks: 2
; VGPRBlocks: 4
; NumSGPRsForWavesPerEU: 20
; NumVGPRsForWavesPerEU: 17
; Occupancy: 10
; WaveLimiterHint : 0
; COMPUTE_PGM_RSRC2:SCRATCH_EN: 0
; COMPUTE_PGM_RSRC2:USER_SGPR: 6
; COMPUTE_PGM_RSRC2:TRAP_HANDLER: 0
; COMPUTE_PGM_RSRC2:TGID_X_EN: 1
; COMPUTE_PGM_RSRC2:TGID_Y_EN: 1
; COMPUTE_PGM_RSRC2:TGID_Z_EN: 1
; COMPUTE_PGM_RSRC2:TIDIG_COMP_CNT: 2
	.section	.AMDGPU.gpr_maximums,"",@progbits
	.set amdgpu.max_num_vgpr, 0
	.set amdgpu.max_num_agpr, 0
	.set amdgpu.max_num_sgpr, 0
	.section	.AMDGPU.csdata,"",@progbits
	.type	__hip_cuid_121aed51966c230e,@object ; @__hip_cuid_121aed51966c230e
	.section	.bss,"aw",@nobits
	.globl	__hip_cuid_121aed51966c230e
__hip_cuid_121aed51966c230e:
	.byte	0                               ; 0x0
	.size	__hip_cuid_121aed51966c230e, 1

	.ident	"AMD clang version 22.0.0git (https://github.com/RadeonOpenCompute/llvm-project roc-7.2.4 26084 f58b06dce1f9c15707c5f808fd002e18c2accf7e)"
	.section	".note.GNU-stack","",@progbits
	.addrsig
	.addrsig_sym __hip_cuid_121aed51966c230e
	.amdgpu_metadata
---
amdhsa.kernels:
  - .args:
      - .address_space:  global
        .offset:         0
        .size:           8
        .value_kind:     global_buffer
      - .address_space:  global
        .offset:         8
        .size:           8
        .value_kind:     global_buffer
      - .offset:         16
        .size:           4
        .value_kind:     by_value
      - .offset:         24
        .size:           8
        .value_kind:     by_value
      - .offset:         32
        .size:           8
        .value_kind:     by_value
      - .offset:         40
        .size:           4
        .value_kind:     hidden_block_count_x
      - .offset:         44
        .size:           4
        .value_kind:     hidden_block_count_y
      - .offset:         48
        .size:           4
        .value_kind:     hidden_block_count_z
      - .offset:         52
        .size:           2
        .value_kind:     hidden_group_size_x
      - .offset:         54
        .size:           2
        .value_kind:     hidden_group_size_y
      - .offset:         56
        .size:           2
        .value_kind:     hidden_group_size_z
      - .offset:         58
        .size:           2
        .value_kind:     hidden_remainder_x
      - .offset:         60
        .size:           2
        .value_kind:     hidden_remainder_y
      - .offset:         62
        .size:           2
        .value_kind:     hidden_remainder_z
      - .offset:         80
        .size:           8
        .value_kind:     hidden_global_offset_x
      - .offset:         88
        .size:           8
        .value_kind:     hidden_global_offset_y
      - .offset:         96
        .size:           8
        .value_kind:     hidden_global_offset_z
      - .offset:         104
        .size:           2
        .value_kind:     hidden_grid_dims
    .group_segment_fixed_size: 0
    .kernarg_segment_align: 8
    .kernarg_segment_size: 296
    .language:       OpenCL C
    .language_version:
      - 2
      - 0
    .max_flat_workgroup_size: 1024
    .name:           _Z19kernel_gpupcg_setupPmS_imm
    .private_segment_fixed_size: 0
    .sgpr_count:     16
    .sgpr_spill_count: 0
    .symbol:         _Z19kernel_gpupcg_setupPmS_imm.kd
    .uniform_work_group_size: 1
    .uses_dynamic_stack: false
    .vgpr_count:     11
    .vgpr_spill_count: 0
    .wavefront_size: 64
  - .args:
      - .offset:         0
        .size:           4
        .value_kind:     by_value
      - .offset:         4
        .size:           4
        .value_kind:     by_value
      - .address_space:  global
        .offset:         8
        .size:           8
        .value_kind:     global_buffer
      - .address_space:  global
        .offset:         16
        .size:           8
        .value_kind:     global_buffer
      - .offset:         24
        .size:           4
        .value_kind:     by_value
      - .offset:         28
        .size:           4
        .value_kind:     by_value
      - .address_space:  global
        .offset:         32
        .size:           8
        .value_kind:     global_buffer
      - .address_space:  global
        .offset:         40
        .size:           8
        .value_kind:     global_buffer
      - .offset:         48
        .size:           4
        .value_kind:     by_value
      - .offset:         56
        .size:           4
        .value_kind:     hidden_block_count_x
      - .offset:         60
        .size:           4
        .value_kind:     hidden_block_count_y
      - .offset:         64
        .size:           4
        .value_kind:     hidden_block_count_z
      - .offset:         68
        .size:           2
        .value_kind:     hidden_group_size_x
      - .offset:         70
        .size:           2
        .value_kind:     hidden_group_size_y
      - .offset:         72
        .size:           2
        .value_kind:     hidden_group_size_z
      - .offset:         74
        .size:           2
        .value_kind:     hidden_remainder_x
      - .offset:         76
        .size:           2
        .value_kind:     hidden_remainder_y
      - .offset:         78
        .size:           2
        .value_kind:     hidden_remainder_z
      - .offset:         96
        .size:           8
        .value_kind:     hidden_global_offset_x
      - .offset:         104
        .size:           8
        .value_kind:     hidden_global_offset_y
      - .offset:         112
        .size:           8
        .value_kind:     hidden_global_offset_z
      - .offset:         120
        .size:           2
        .value_kind:     hidden_grid_dims
    .group_segment_fixed_size: 4320
    .kernarg_segment_align: 8
    .kernarg_segment_size: 312
    .language:       OpenCL C
    .language_version:
      - 2
      - 0
    .max_flat_workgroup_size: 1024
    .name:           _Z17kernel_metropolisiiPiPKiffPmS2_i
    .private_segment_fixed_size: 0
    .sgpr_count:     23
    .sgpr_spill_count: 0
    .symbol:         _Z17kernel_metropolisiiPiPKiffPmS2_i.kd
    .uniform_work_group_size: 1
    .uses_dynamic_stack: false
    .vgpr_count:     29
    .vgpr_spill_count: 0
    .wavefront_size: 64
  - .args:
      - .address_space:  global
        .offset:         0
        .size:           8
        .value_kind:     global_buffer
      - .offset:         8
        .size:           4
        .value_kind:     by_value
      - .address_space:  global
        .offset:         16
        .size:           8
        .value_kind:     global_buffer
      - .address_space:  global
        .offset:         24
        .size:           8
        .value_kind:     global_buffer
      - .offset:         32
        .size:           4
        .value_kind:     hidden_block_count_x
      - .offset:         36
        .size:           4
        .value_kind:     hidden_block_count_y
      - .offset:         40
        .size:           4
        .value_kind:     hidden_block_count_z
      - .offset:         44
        .size:           2
        .value_kind:     hidden_group_size_x
      - .offset:         46
        .size:           2
        .value_kind:     hidden_group_size_y
      - .offset:         48
        .size:           2
        .value_kind:     hidden_group_size_z
      - .offset:         50
        .size:           2
        .value_kind:     hidden_remainder_x
      - .offset:         52
        .size:           2
        .value_kind:     hidden_remainder_y
      - .offset:         54
        .size:           2
        .value_kind:     hidden_remainder_z
      - .offset:         72
        .size:           8
        .value_kind:     hidden_global_offset_x
      - .offset:         80
        .size:           8
        .value_kind:     hidden_global_offset_y
      - .offset:         88
        .size:           8
        .value_kind:     hidden_global_offset_z
      - .offset:         96
        .size:           2
        .value_kind:     hidden_grid_dims
    .group_segment_fixed_size: 0
    .kernarg_segment_align: 8
    .kernarg_segment_size: 288
    .language:       OpenCL C
    .language_version:
      - 2
      - 0
    .max_flat_workgroup_size: 1024
    .name:           _Z26kernel_reset_random_gpupcgPiiPmS0_
    .private_segment_fixed_size: 0
    .sgpr_count:     16
    .sgpr_spill_count: 0
    .symbol:         _Z26kernel_reset_random_gpupcgPiiPmS0_.kd
    .uniform_work_group_size: 1
    .uses_dynamic_stack: false
    .vgpr_count:     14
    .vgpr_spill_count: 0
    .wavefront_size: 64
  - .args:
      - .address_space:  global
        .offset:         0
        .size:           8
        .value_kind:     global_buffer
      - .offset:         8
        .size:           4
        .value_kind:     by_value
      - .offset:         12
        .size:           4
        .value_kind:     by_value
      - .offset:         16
        .size:           4
        .value_kind:     hidden_block_count_x
      - .offset:         20
        .size:           4
        .value_kind:     hidden_block_count_y
      - .offset:         24
        .size:           4
        .value_kind:     hidden_block_count_z
      - .offset:         28
        .size:           2
        .value_kind:     hidden_group_size_x
      - .offset:         30
        .size:           2
        .value_kind:     hidden_group_size_y
      - .offset:         32
        .size:           2
        .value_kind:     hidden_group_size_z
      - .offset:         34
        .size:           2
        .value_kind:     hidden_remainder_x
      - .offset:         36
        .size:           2
        .value_kind:     hidden_remainder_y
      - .offset:         38
        .size:           2
        .value_kind:     hidden_remainder_z
      - .offset:         56
        .size:           8
        .value_kind:     hidden_global_offset_x
      - .offset:         64
        .size:           8
        .value_kind:     hidden_global_offset_y
      - .offset:         72
        .size:           8
        .value_kind:     hidden_global_offset_z
      - .offset:         80
        .size:           2
        .value_kind:     hidden_grid_dims
    .group_segment_fixed_size: 0
    .kernarg_segment_align: 8
    .kernarg_segment_size: 272
    .language:       OpenCL C
    .language_version:
      - 2
      - 0
    .max_flat_workgroup_size: 1024
    .name:           _Z12kernel_resetIiEvPT_iS0_
    .private_segment_fixed_size: 0
    .sgpr_count:     11
    .sgpr_spill_count: 0
    .symbol:         _Z12kernel_resetIiEvPT_iS0_.kd
    .uniform_work_group_size: 1
    .uses_dynamic_stack: false
    .vgpr_count:     3
    .vgpr_spill_count: 0
    .wavefront_size: 64
  - .args:
      - .address_space:  global
        .offset:         0
        .size:           8
        .value_kind:     global_buffer
      - .offset:         8
        .size:           4
        .value_kind:     by_value
      - .offset:         12
        .size:           4
        .value_kind:     by_value
      - .offset:         16
        .size:           4
        .value_kind:     hidden_block_count_x
      - .offset:         20
        .size:           4
        .value_kind:     hidden_block_count_y
      - .offset:         24
        .size:           4
        .value_kind:     hidden_block_count_z
      - .offset:         28
        .size:           2
        .value_kind:     hidden_group_size_x
      - .offset:         30
        .size:           2
        .value_kind:     hidden_group_size_y
      - .offset:         32
        .size:           2
        .value_kind:     hidden_group_size_z
      - .offset:         34
        .size:           2
        .value_kind:     hidden_remainder_x
      - .offset:         36
        .size:           2
        .value_kind:     hidden_remainder_y
      - .offset:         38
        .size:           2
        .value_kind:     hidden_remainder_z
      - .offset:         56
        .size:           8
        .value_kind:     hidden_global_offset_x
      - .offset:         64
        .size:           8
        .value_kind:     hidden_global_offset_y
      - .offset:         72
        .size:           8
        .value_kind:     hidden_global_offset_z
      - .offset:         80
        .size:           2
        .value_kind:     hidden_grid_dims
    .group_segment_fixed_size: 0
    .kernarg_segment_align: 8
    .kernarg_segment_size: 272
    .language:       OpenCL C
    .language_version:
      - 2
      - 0
    .max_flat_workgroup_size: 1024
    .name:           _Z12kernel_resetIfEvPT_iS0_
    .private_segment_fixed_size: 0
    .sgpr_count:     11
    .sgpr_spill_count: 0
    .symbol:         _Z12kernel_resetIfEvPT_iS0_.kd
    .uniform_work_group_size: 1
    .uses_dynamic_stack: false
    .vgpr_count:     3
    .vgpr_spill_count: 0
    .wavefront_size: 64
  - .args:
      - .address_space:  global
        .offset:         0
        .size:           8
        .value_kind:     global_buffer
      - .offset:         8
        .size:           4
        .value_kind:     by_value
      - .address_space:  global
        .offset:         16
        .size:           8
        .value_kind:     global_buffer
      - .address_space:  global
        .offset:         24
        .size:           8
        .value_kind:     global_buffer
      - .offset:         32
        .size:           4
        .value_kind:     by_value
      - .offset:         40
        .size:           4
        .value_kind:     hidden_block_count_x
      - .offset:         44
        .size:           4
        .value_kind:     hidden_block_count_y
      - .offset:         48
        .size:           4
        .value_kind:     hidden_block_count_z
      - .offset:         52
        .size:           2
        .value_kind:     hidden_group_size_x
      - .offset:         54
        .size:           2
        .value_kind:     hidden_group_size_y
      - .offset:         56
        .size:           2
        .value_kind:     hidden_group_size_z
      - .offset:         58
        .size:           2
        .value_kind:     hidden_remainder_x
      - .offset:         60
        .size:           2
        .value_kind:     hidden_remainder_y
      - .offset:         62
        .size:           2
        .value_kind:     hidden_remainder_z
      - .offset:         80
        .size:           8
        .value_kind:     hidden_global_offset_x
      - .offset:         88
        .size:           8
        .value_kind:     hidden_global_offset_y
      - .offset:         96
        .size:           8
        .value_kind:     hidden_global_offset_z
      - .offset:         104
        .size:           2
        .value_kind:     hidden_grid_dims
    .group_segment_fixed_size: 128
    .kernarg_segment_align: 8
    .kernarg_segment_size: 296
    .language:       OpenCL C
    .language_version:
      - 2
      - 0
    .max_flat_workgroup_size: 1024
    .name:           _Z16kernel_redenergyIfEvPKiiPT_S1_f
    .private_segment_fixed_size: 0
    .sgpr_count:     20
    .sgpr_spill_count: 0
    .symbol:         _Z16kernel_redenergyIfEvPKiiPT_S1_f.kd
    .uniform_work_group_size: 1
    .uses_dynamic_stack: false
    .vgpr_count:     17
    .vgpr_spill_count: 0
    .wavefront_size: 64
amdhsa.target:   amdgcn-amd-amdhsa--gfx906
amdhsa.version:
  - 1
  - 2
...

	.end_amdgpu_metadata
